;; amdgpu-corpus repo=llvm/llvm-project kind=harvested arch=n/a opt=n/a
// NOTE: Assertions have been autogenerated by utils/update_mc_test_checks.py UTC_ARGS: --unique --sort --version 6
// RUN: not llvm-mc -triple=amdgcn -mcpu=bonaire %s -filetype=null 2>&1 | FileCheck --implicit-check-not=error: %s

ds_gws_barrier v1 nogds
// CHECK: :[[@LINE-1]]:19: error: nogds is not allowed

ds_gws_barrier v255 offset:65535 nogds
// CHECK: :[[@LINE-1]]:34: error: nogds is not allowed

ds_gws_init v1 nogds
// CHECK: :[[@LINE-1]]:16: error: nogds is not allowed

ds_gws_init v1 offset:65535 nogds
// CHECK: :[[@LINE-1]]:29: error: nogds is not allowed

ds_gws_sema_br v1 nogds
// CHECK: :[[@LINE-1]]:19: error: nogds is not allowed

ds_gws_sema_br v1 offset:65535 nogds
// CHECK: :[[@LINE-1]]:32: error: nogds is not allowed

ds_gws_sema_p nogds
// CHECK: :[[@LINE-1]]:15: error: nogds is not allowed

ds_gws_sema_p offset:65535 nogds
// CHECK: :[[@LINE-1]]:28: error: nogds is not allowed

ds_gws_sema_release_all nogds
// CHECK: :[[@LINE-1]]:25: error: nogds is not allowed

ds_gws_sema_release_all offset:65535 nogds
// CHECK: :[[@LINE-1]]:38: error: nogds is not allowed

ds_gws_sema_v nogds
// CHECK: :[[@LINE-1]]:15: error: nogds is not allowed

ds_gws_sema_v offset:65535 nogds
// CHECK: :[[@LINE-1]]:28: error: nogds is not allowed
